;; amdgpu-corpus repo=amd/amd-lab-notes kind=compiled arch=gfx1250 opt=O3
	.amdgcn_target "amdgcn-amd-amdhsa--gfx1250"
	.amdhsa_code_object_version 6
	.section	.text._Z20test_function_kernelIfEvPT_iiiS0_S0_S0_,"axG",@progbits,_Z20test_function_kernelIfEvPT_iiiS0_S0_S0_,comdat
	.protected	_Z20test_function_kernelIfEvPT_iiiS0_S0_S0_ ; -- Begin function _Z20test_function_kernelIfEvPT_iiiS0_S0_S0_
	.globl	_Z20test_function_kernelIfEvPT_iiiS0_S0_S0_
	.p2align	8
	.type	_Z20test_function_kernelIfEvPT_iiiS0_S0_S0_,@function
_Z20test_function_kernelIfEvPT_iiiS0_S0_S0_: ; @_Z20test_function_kernelIfEvPT_iiiS0_S0_S0_
; %bb.0:
	s_clause 0x1
	s_load_b64 s[2:3], s[0:1], 0x2c
	s_load_b128 s[4:7], s[0:1], 0x8
	s_bfe_u32 s11, ttmp6, 0x40014
	s_bfe_u32 s9, ttmp6, 0x4000c
	;; [unrolled: 1-line block ×3, first 2 shown]
	s_lshr_b32 s10, ttmp7, 16
	s_add_co_i32 s11, s11, 1
	s_and_b32 s13, ttmp7, 0xffff
	s_add_co_i32 s9, s9, 1
	s_add_co_i32 s14, s14, 1
	s_bfe_u32 s12, ttmp6, 0x40008
	s_mul_i32 s11, s10, s11
	s_and_b32 s8, ttmp6, 15
	s_bfe_u32 s15, ttmp6, 0x40004
	s_mul_i32 s9, ttmp9, s9
	s_mul_i32 s14, s13, s14
	s_add_co_i32 s12, s12, s11
	s_getreg_b32 s11, hwreg(HW_REG_IB_STS2, 6, 4)
	s_add_co_i32 s8, s8, s9
	s_add_co_i32 s15, s15, s14
	s_wait_kmcnt 0x0
	s_and_b32 s3, s3, 0xffff
	s_lshr_b32 s9, s2, 16
	s_and_b32 s2, s2, 0xffff
	v_bfe_u32 v1, v0, 10, 10
	v_and_b32_e32 v2, 0x3ff, v0
	s_cmp_eq_u32 s11, 0
	v_bfe_u32 v3, v0, 20, 10
	s_cselect_b32 s11, s13, s15
	s_cselect_b32 s8, ttmp9, s8
	v_mad_u32 v1, s11, s9, v1
	v_mad_u32 v0, s8, s2, v2
	s_cselect_b32 s2, s10, s12
	s_delay_alu instid0(SALU_CYCLE_1) | instskip(NEXT) | instid1(VALU_DEP_3)
	v_mad_u32 v2, s2, s3, v3
	v_cmp_gt_i32_e64 s2, s5, v1
	s_delay_alu instid0(VALU_DEP_3) | instskip(NEXT) | instid1(VALU_DEP_3)
	v_cmp_gt_i32_e32 vcc_lo, s4, v0
	v_cmp_gt_i32_e64 s3, s6, v2
	s_and_b32 s2, vcc_lo, s2
	s_delay_alu instid0(SALU_CYCLE_1) | instskip(NEXT) | instid1(SALU_CYCLE_1)
	s_and_b32 s2, s2, s3
	s_and_saveexec_b32 s3, s2
	s_cbranch_execz .LBB0_2
; %bb.1:
	s_load_b64 s[2:3], s[0:1], 0x18
	s_cvt_f32_i32 s8, s5
	v_cvt_f32_i32_e32 v4, v1
	v_cvt_f32_i32_e32 v7, v2
	;; [unrolled: 1-line block ×3, first 2 shown]
	v_mov_b32_e32 v5, s8
	v_mad_u32 v1, v2, s5, v1
	s_wait_xcnt 0x0
	s_load_b64 s[0:1], s[0:1], 0x0
	s_delay_alu instid0(VALU_DEP_1)
	v_mad_u32 v0, v1, s4, v0
	s_wait_kmcnt 0x0
	v_pk_mul_f32 v[4:5], s[2:3], v[4:5] op_sel_hi:[0,1]
	s_mov_b32 s2, s7
	s_cvt_f32_i32 s7, s4
	v_mov_b64_e32 v[8:9], s[2:3]
	s_cvt_f32_i32 s2, s6
	s_delay_alu instid0(SALU_CYCLE_3) | instskip(NEXT) | instid1(VALU_DEP_2)
	v_dual_mov_b32 v10, s7 :: v_dual_mov_b32 v11, s2
	v_pk_mul_f32 v[6:7], v[8:9], v[6:7]
	s_delay_alu instid0(VALU_DEP_1) | instskip(NEXT) | instid1(VALU_DEP_3)
	v_pk_mul_f32 v[2:3], v[6:7], 0.5 op_sel_hi:[1,0]
	v_pk_fma_f32 v[6:7], v[8:9], v[10:11], v[6:7] neg_lo:[1,0,0] neg_hi:[1,0,0]
	v_mul_f32_e32 v8, 0.5, v4
	s_delay_alu instid0(VALU_DEP_2) | instskip(SKIP_1) | instid1(VALU_DEP_1)
	v_pk_mul_f32 v[2:3], v[2:3], v[6:7]
	v_sub_f32_e32 v4, v4, v5
	v_fma_f32 v1, v8, v4, v2
	s_delay_alu instid0(VALU_DEP_1)
	v_add_f32_e32 v1, v1, v3
	global_store_b32 v0, v1, s[0:1] scale_offset
.LBB0_2:
	s_endpgm
	.section	.rodata,"a",@progbits
	.p2align	6, 0x0
	.amdhsa_kernel _Z20test_function_kernelIfEvPT_iiiS0_S0_S0_
		.amdhsa_group_segment_fixed_size 0
		.amdhsa_private_segment_fixed_size 0
		.amdhsa_kernarg_size 288
		.amdhsa_user_sgpr_count 2
		.amdhsa_user_sgpr_dispatch_ptr 0
		.amdhsa_user_sgpr_queue_ptr 0
		.amdhsa_user_sgpr_kernarg_segment_ptr 1
		.amdhsa_user_sgpr_dispatch_id 0
		.amdhsa_user_sgpr_kernarg_preload_length 0
		.amdhsa_user_sgpr_kernarg_preload_offset 0
		.amdhsa_user_sgpr_private_segment_size 0
		.amdhsa_wavefront_size32 1
		.amdhsa_uses_dynamic_stack 0
		.amdhsa_enable_private_segment 0
		.amdhsa_system_sgpr_workgroup_id_x 1
		.amdhsa_system_sgpr_workgroup_id_y 1
		.amdhsa_system_sgpr_workgroup_id_z 1
		.amdhsa_system_sgpr_workgroup_info 0
		.amdhsa_system_vgpr_workitem_id 2
		.amdhsa_next_free_vgpr 12
		.amdhsa_next_free_sgpr 16
		.amdhsa_named_barrier_count 0
		.amdhsa_reserve_vcc 1
		.amdhsa_float_round_mode_32 0
		.amdhsa_float_round_mode_16_64 0
		.amdhsa_float_denorm_mode_32 3
		.amdhsa_float_denorm_mode_16_64 3
		.amdhsa_fp16_overflow 0
		.amdhsa_memory_ordered 1
		.amdhsa_forward_progress 1
		.amdhsa_inst_pref_size 4
		.amdhsa_round_robin_scheduling 0
		.amdhsa_exception_fp_ieee_invalid_op 0
		.amdhsa_exception_fp_denorm_src 0
		.amdhsa_exception_fp_ieee_div_zero 0
		.amdhsa_exception_fp_ieee_overflow 0
		.amdhsa_exception_fp_ieee_underflow 0
		.amdhsa_exception_fp_ieee_inexact 0
		.amdhsa_exception_int_div_zero 0
	.end_amdhsa_kernel
	.section	.text._Z20test_function_kernelIfEvPT_iiiS0_S0_S0_,"axG",@progbits,_Z20test_function_kernelIfEvPT_iiiS0_S0_S0_,comdat
.Lfunc_end0:
	.size	_Z20test_function_kernelIfEvPT_iiiS0_S0_S0_, .Lfunc_end0-_Z20test_function_kernelIfEvPT_iiiS0_S0_S0_
                                        ; -- End function
	.set _Z20test_function_kernelIfEvPT_iiiS0_S0_S0_.num_vgpr, 12
	.set _Z20test_function_kernelIfEvPT_iiiS0_S0_S0_.num_agpr, 0
	.set _Z20test_function_kernelIfEvPT_iiiS0_S0_S0_.numbered_sgpr, 16
	.set _Z20test_function_kernelIfEvPT_iiiS0_S0_S0_.num_named_barrier, 0
	.set _Z20test_function_kernelIfEvPT_iiiS0_S0_S0_.private_seg_size, 0
	.set _Z20test_function_kernelIfEvPT_iiiS0_S0_S0_.uses_vcc, 1
	.set _Z20test_function_kernelIfEvPT_iiiS0_S0_S0_.uses_flat_scratch, 0
	.set _Z20test_function_kernelIfEvPT_iiiS0_S0_S0_.has_dyn_sized_stack, 0
	.set _Z20test_function_kernelIfEvPT_iiiS0_S0_S0_.has_recursion, 0
	.set _Z20test_function_kernelIfEvPT_iiiS0_S0_S0_.has_indirect_call, 0
	.section	.AMDGPU.csdata,"",@progbits
; Kernel info:
; codeLenInByte = 432
; TotalNumSgprs: 18
; NumVgprs: 12
; ScratchSize: 0
; MemoryBound: 0
; FloatMode: 240
; IeeeMode: 1
; LDSByteSize: 0 bytes/workgroup (compile time only)
; SGPRBlocks: 0
; VGPRBlocks: 0
; NumSGPRsForWavesPerEU: 18
; NumVGPRsForWavesPerEU: 12
; NamedBarCnt: 0
; Occupancy: 16
; WaveLimiterHint : 0
; COMPUTE_PGM_RSRC2:SCRATCH_EN: 0
; COMPUTE_PGM_RSRC2:USER_SGPR: 2
; COMPUTE_PGM_RSRC2:TRAP_HANDLER: 0
; COMPUTE_PGM_RSRC2:TGID_X_EN: 1
; COMPUTE_PGM_RSRC2:TGID_Y_EN: 1
; COMPUTE_PGM_RSRC2:TGID_Z_EN: 1
; COMPUTE_PGM_RSRC2:TIDIG_COMP_CNT: 2
	.section	.text._Z16laplacian_kernelIfEvPT_PKS0_iiiS0_S0_S0_S0_,"axG",@progbits,_Z16laplacian_kernelIfEvPT_PKS0_iiiS0_S0_S0_S0_,comdat
	.protected	_Z16laplacian_kernelIfEvPT_PKS0_iiiS0_S0_S0_S0_ ; -- Begin function _Z16laplacian_kernelIfEvPT_PKS0_iiiS0_S0_S0_S0_
	.globl	_Z16laplacian_kernelIfEvPT_PKS0_iiiS0_S0_S0_S0_
	.p2align	8
	.type	_Z16laplacian_kernelIfEvPT_PKS0_iiiS0_S0_S0_S0_,@function
_Z16laplacian_kernelIfEvPT_PKS0_iiiS0_S0_S0_S0_: ; @_Z16laplacian_kernelIfEvPT_PKS0_iiiS0_S0_S0_S0_
; %bb.0:
	s_load_b32 s2, s[0:1], 0x3c
	s_bfe_u32 s3, ttmp6, 0x4000c
	s_and_b32 s4, ttmp6, 15
	s_add_co_i32 s3, s3, 1
	v_and_b32_e32 v1, 0x3ff, v0
	s_mul_i32 s5, ttmp9, s3
	s_getreg_b32 s3, hwreg(HW_REG_IB_STS2, 6, 4)
	s_add_co_i32 s4, s4, s5
	s_wait_kmcnt 0x0
	s_and_b32 s5, s2, 0xffff
	s_cmp_eq_u32 s3, 0
	s_cselect_b32 s4, ttmp9, s4
	s_delay_alu instid0(SALU_CYCLE_1) | instskip(SKIP_1) | instid1(VALU_DEP_1)
	v_mad_u32 v1, s4, s5, v1
	s_mov_b32 s4, exec_lo
	v_cmpx_ne_u32_e32 0, v1
	s_cbranch_execz .LBB1_4
; %bb.1:
	s_clause 0x1
	s_load_b32 s8, s[0:1], 0x40
	s_load_b128 s[4:7], s[0:1], 0x10
	s_bfe_u32 s9, ttmp6, 0x40010
	s_and_b32 s10, ttmp7, 0xffff
	s_add_co_i32 s9, s9, 1
	s_bfe_u32 s11, ttmp6, 0x40004
	s_mul_i32 s9, s10, s9
	s_lshr_b32 s2, s2, 16
	s_add_co_i32 s11, s11, s9
	v_bfe_u32 v2, v0, 10, 10
	s_wait_kmcnt 0x0
	s_and_b32 s8, s8, 0xffff
	s_cmp_eq_u32 s3, 0
	s_cselect_b32 s9, s10, s11
	s_delay_alu instid0(SALU_CYCLE_1) | instskip(SKIP_1) | instid1(SALU_CYCLE_1)
	v_mad_u32 v2, s9, s2, v2
	s_add_co_i32 s2, s4, -1
	v_cmp_gt_i32_e32 vcc_lo, s2, v1
	s_delay_alu instid0(VALU_DEP_2) | instskip(SKIP_1) | instid1(SALU_CYCLE_1)
	v_cmp_ne_u32_e64 s2, 0, v2
	s_and_b32 s2, vcc_lo, s2
	s_and_b32 exec_lo, exec_lo, s2
	s_cbranch_execz .LBB1_4
; %bb.2:
	s_bfe_u32 s2, ttmp6, 0x40014
	s_lshr_b32 s9, ttmp7, 16
	s_add_co_i32 s2, s2, 1
	s_bfe_u32 s10, ttmp6, 0x40008
	s_mul_i32 s2, s9, s2
	s_and_b32 s11, s8, 0xffff
	s_add_co_i32 s10, s10, s2
	v_bfe_u32 v0, v0, 20, 10
	s_cmp_eq_u32 s3, 0
	s_cselect_b32 s2, s9, s10
	s_load_b96 s[8:10], s[0:1], 0x20
	s_delay_alu instid0(VALU_DEP_1) | instskip(SKIP_3) | instid1(VALU_DEP_2)
	v_mad_u32 v0, s2, s11, v0
	s_add_co_i32 s2, s5, -1
	s_add_co_i32 s3, s6, -1
	v_cmp_gt_i32_e32 vcc_lo, s2, v2
	v_cmp_gt_i32_e64 s2, s3, v0
	v_cmp_ne_u32_e64 s3, 0, v0
	s_and_b32 s2, vcc_lo, s2
	s_delay_alu instid0(SALU_CYCLE_1) | instskip(NEXT) | instid1(SALU_CYCLE_1)
	s_and_b32 s2, s2, s3
	s_and_b32 exec_lo, exec_lo, s2
	s_cbranch_execz .LBB1_4
; %bb.3:
	v_mad_u32 v1, v2, s4, v1
	s_wait_xcnt 0x0
	s_load_b128 s[0:3], s[0:1], 0x0
	s_mul_i32 s12, s5, s4
	s_ashr_i32 s5, s4, 31
	s_ashr_i32 s13, s12, 31
	s_delay_alu instid0(VALU_DEP_1) | instskip(NEXT) | instid1(VALU_DEP_1)
	v_mad_u32 v4, v0, s12, v1
	v_ashrrev_i32_e32 v5, 31, v4
	s_wait_kmcnt 0x0
	s_delay_alu instid0(VALU_DEP_1)
	v_lshl_add_u64 v[6:7], v[4:5], 2, s[2:3]
	global_load_b96 v[0:2], v[6:7], off offset:-4
	v_lshl_add_u64 v[12:13], s[12:13], 2, v[6:7]
	s_wait_xcnt 0x0
	v_lshl_add_u64 v[6:7], s[4:5], 2, v[6:7]
	s_wait_loadcnt 0x0
	v_add_f32_e32 v0, v0, v2
	v_sub_nc_u64_e64 v[8:9], v[4:5], s[4:5]
	v_sub_nc_u64_e64 v[10:11], v[4:5], s[12:13]
	s_delay_alu instid0(VALU_DEP_3) | instskip(SKIP_1) | instid1(VALU_DEP_4)
	v_dual_mov_b32 v2, s8 :: v_dual_mul_f32 v5, s7, v0
	v_mov_b32_e32 v3, s9
	v_lshl_add_u64 v[8:9], v[8:9], 2, s[2:3]
	s_delay_alu instid0(VALU_DEP_4) | instskip(NEXT) | instid1(VALU_DEP_4)
	v_lshl_add_u64 v[10:11], v[10:11], 2, s[2:3]
	v_fmac_f32_e32 v5, s10, v1
	s_clause 0x3
	global_load_b32 v15, v[12:13], off
	global_load_b32 v16, v[8:9], off
	;; [unrolled: 1-line block ×4, first 2 shown]
	s_wait_loadcnt 0x0
	v_pk_add_f32 v[6:7], v[16:17], v[14:15]
	s_delay_alu instid0(VALU_DEP_1) | instskip(NEXT) | instid1(VALU_DEP_1)
	v_pk_mul_f32 v[0:1], v[2:3], v[6:7]
	v_add_f32_e32 v0, v5, v0
	s_delay_alu instid0(VALU_DEP_1)
	v_add_f32_e32 v0, v0, v1
	global_store_b32 v4, v0, s[0:1] scale_offset
.LBB1_4:
	s_endpgm
	.section	.rodata,"a",@progbits
	.p2align	6, 0x0
	.amdhsa_kernel _Z16laplacian_kernelIfEvPT_PKS0_iiiS0_S0_S0_S0_
		.amdhsa_group_segment_fixed_size 0
		.amdhsa_private_segment_fixed_size 0
		.amdhsa_kernarg_size 304
		.amdhsa_user_sgpr_count 2
		.amdhsa_user_sgpr_dispatch_ptr 0
		.amdhsa_user_sgpr_queue_ptr 0
		.amdhsa_user_sgpr_kernarg_segment_ptr 1
		.amdhsa_user_sgpr_dispatch_id 0
		.amdhsa_user_sgpr_kernarg_preload_length 0
		.amdhsa_user_sgpr_kernarg_preload_offset 0
		.amdhsa_user_sgpr_private_segment_size 0
		.amdhsa_wavefront_size32 1
		.amdhsa_uses_dynamic_stack 0
		.amdhsa_enable_private_segment 0
		.amdhsa_system_sgpr_workgroup_id_x 1
		.amdhsa_system_sgpr_workgroup_id_y 1
		.amdhsa_system_sgpr_workgroup_id_z 1
		.amdhsa_system_sgpr_workgroup_info 0
		.amdhsa_system_vgpr_workitem_id 2
		.amdhsa_next_free_vgpr 18
		.amdhsa_next_free_sgpr 14
		.amdhsa_named_barrier_count 0
		.amdhsa_reserve_vcc 1
		.amdhsa_float_round_mode_32 0
		.amdhsa_float_round_mode_16_64 0
		.amdhsa_float_denorm_mode_32 3
		.amdhsa_float_denorm_mode_16_64 3
		.amdhsa_fp16_overflow 0
		.amdhsa_memory_ordered 1
		.amdhsa_forward_progress 1
		.amdhsa_inst_pref_size 5
		.amdhsa_round_robin_scheduling 0
		.amdhsa_exception_fp_ieee_invalid_op 0
		.amdhsa_exception_fp_denorm_src 0
		.amdhsa_exception_fp_ieee_div_zero 0
		.amdhsa_exception_fp_ieee_overflow 0
		.amdhsa_exception_fp_ieee_underflow 0
		.amdhsa_exception_fp_ieee_inexact 0
		.amdhsa_exception_int_div_zero 0
	.end_amdhsa_kernel
	.section	.text._Z16laplacian_kernelIfEvPT_PKS0_iiiS0_S0_S0_S0_,"axG",@progbits,_Z16laplacian_kernelIfEvPT_PKS0_iiiS0_S0_S0_S0_,comdat
.Lfunc_end1:
	.size	_Z16laplacian_kernelIfEvPT_PKS0_iiiS0_S0_S0_S0_, .Lfunc_end1-_Z16laplacian_kernelIfEvPT_PKS0_iiiS0_S0_S0_S0_
                                        ; -- End function
	.set _Z16laplacian_kernelIfEvPT_PKS0_iiiS0_S0_S0_S0_.num_vgpr, 18
	.set _Z16laplacian_kernelIfEvPT_PKS0_iiiS0_S0_S0_S0_.num_agpr, 0
	.set _Z16laplacian_kernelIfEvPT_PKS0_iiiS0_S0_S0_S0_.numbered_sgpr, 14
	.set _Z16laplacian_kernelIfEvPT_PKS0_iiiS0_S0_S0_S0_.num_named_barrier, 0
	.set _Z16laplacian_kernelIfEvPT_PKS0_iiiS0_S0_S0_S0_.private_seg_size, 0
	.set _Z16laplacian_kernelIfEvPT_PKS0_iiiS0_S0_S0_S0_.uses_vcc, 1
	.set _Z16laplacian_kernelIfEvPT_PKS0_iiiS0_S0_S0_S0_.uses_flat_scratch, 0
	.set _Z16laplacian_kernelIfEvPT_PKS0_iiiS0_S0_S0_S0_.has_dyn_sized_stack, 0
	.set _Z16laplacian_kernelIfEvPT_PKS0_iiiS0_S0_S0_S0_.has_recursion, 0
	.set _Z16laplacian_kernelIfEvPT_PKS0_iiiS0_S0_S0_S0_.has_indirect_call, 0
	.section	.AMDGPU.csdata,"",@progbits
; Kernel info:
; codeLenInByte = 608
; TotalNumSgprs: 16
; NumVgprs: 18
; ScratchSize: 0
; MemoryBound: 0
; FloatMode: 240
; IeeeMode: 1
; LDSByteSize: 0 bytes/workgroup (compile time only)
; SGPRBlocks: 0
; VGPRBlocks: 1
; NumSGPRsForWavesPerEU: 16
; NumVGPRsForWavesPerEU: 18
; NamedBarCnt: 0
; Occupancy: 16
; WaveLimiterHint : 0
; COMPUTE_PGM_RSRC2:SCRATCH_EN: 0
; COMPUTE_PGM_RSRC2:USER_SGPR: 2
; COMPUTE_PGM_RSRC2:TRAP_HANDLER: 0
; COMPUTE_PGM_RSRC2:TGID_X_EN: 1
; COMPUTE_PGM_RSRC2:TGID_Y_EN: 1
; COMPUTE_PGM_RSRC2:TGID_Z_EN: 1
; COMPUTE_PGM_RSRC2:TIDIG_COMP_CNT: 2
	.section	.text._Z12check_kernelIfEvPiPKT_iiiS1_S1_S1_d,"axG",@progbits,_Z12check_kernelIfEvPiPKT_iiiS1_S1_S1_d,comdat
	.protected	_Z12check_kernelIfEvPiPKT_iiiS1_S1_S1_d ; -- Begin function _Z12check_kernelIfEvPiPKT_iiiS1_S1_S1_d
	.globl	_Z12check_kernelIfEvPiPKT_iiiS1_S1_S1_d
	.p2align	8
	.type	_Z12check_kernelIfEvPiPKT_iiiS1_S1_S1_d,@function
_Z12check_kernelIfEvPiPKT_iiiS1_S1_S1_d: ; @_Z12check_kernelIfEvPiPKT_iiiS1_S1_S1_d
; %bb.0:
	s_load_b32 s2, s[0:1], 0x3c
	s_bfe_u32 s3, ttmp6, 0x4000c
	s_and_b32 s4, ttmp6, 15
	s_add_co_i32 s3, s3, 1
	v_and_b32_e32 v1, 0x3ff, v0
	s_mul_i32 s5, ttmp9, s3
	s_getreg_b32 s3, hwreg(HW_REG_IB_STS2, 6, 4)
	s_add_co_i32 s4, s4, s5
	s_wait_kmcnt 0x0
	s_and_b32 s5, s2, 0xffff
	s_cmp_eq_u32 s3, 0
	s_cselect_b32 s4, ttmp9, s4
	s_delay_alu instid0(SALU_CYCLE_1) | instskip(SKIP_1) | instid1(VALU_DEP_1)
	v_mad_u32 v1, s4, s5, v1
	s_mov_b32 s4, exec_lo
	v_cmpx_ne_u32_e32 0, v1
	s_cbranch_execz .LBB2_6
; %bb.1:
	s_clause 0x1
	s_load_b32 s4, s[0:1], 0x40
	s_load_b96 s[8:10], s[0:1], 0x10
	s_bfe_u32 s5, ttmp6, 0x40010
	s_and_b32 s6, ttmp7, 0xffff
	s_add_co_i32 s5, s5, 1
	s_bfe_u32 s7, ttmp6, 0x40004
	s_mul_i32 s5, s6, s5
	s_lshr_b32 s2, s2, 16
	s_add_co_i32 s7, s7, s5
	v_bfe_u32 v2, v0, 10, 10
	s_wait_kmcnt 0x0
	s_and_b32 s4, s4, 0xffff
	s_cmp_eq_u32 s3, 0
	s_cselect_b32 s5, s6, s7
	s_delay_alu instid0(SALU_CYCLE_1) | instskip(SKIP_1) | instid1(SALU_CYCLE_1)
	v_mad_u32 v2, s5, s2, v2
	s_add_co_i32 s2, s8, -1
	v_cmp_gt_i32_e32 vcc_lo, s2, v1
	s_delay_alu instid0(VALU_DEP_2) | instskip(SKIP_1) | instid1(SALU_CYCLE_1)
	v_cmp_ne_u32_e64 s2, 0, v2
	s_and_b32 s2, vcc_lo, s2
	s_and_b32 exec_lo, exec_lo, s2
	s_cbranch_execz .LBB2_6
; %bb.2:
	s_bfe_u32 s2, ttmp6, 0x40014
	s_lshr_b32 s5, ttmp7, 16
	s_add_co_i32 s2, s2, 1
	s_bfe_u32 s6, ttmp6, 0x40008
	s_mul_i32 s2, s5, s2
	s_and_b32 s4, s4, 0xffff
	s_add_co_i32 s6, s6, s2
	v_bfe_u32 v0, v0, 20, 10
	s_cmp_eq_u32 s3, 0
	s_cselect_b32 s2, s5, s6
	s_add_co_i32 s3, s10, -1
	s_delay_alu instid0(VALU_DEP_1) | instskip(SKIP_1) | instid1(SALU_CYCLE_1)
	v_mad_u32 v0, s2, s4, v0
	s_add_co_i32 s2, s9, -1
	v_cmp_gt_i32_e32 vcc_lo, s2, v2
	s_delay_alu instid0(VALU_DEP_2) | instskip(SKIP_2) | instid1(SALU_CYCLE_1)
	v_cmp_gt_i32_e64 s2, s3, v0
	v_cmp_ne_u32_e64 s3, 0, v0
	s_and_b32 s2, vcc_lo, s2
	s_and_b32 s2, s2, s3
	s_delay_alu instid0(SALU_CYCLE_1)
	s_and_b32 exec_lo, exec_lo, s2
	s_cbranch_execz .LBB2_6
; %bb.3:
	v_mad_u32 v0, v0, s9, v2
	s_load_b128 s[4:7], s[0:1], 0x0
	s_delay_alu instid0(VALU_DEP_1)
	v_mad_u32 v0, v0, s8, v1
	s_wait_xcnt 0x0
	s_load_b64 s[0:1], s[0:1], 0x28
	s_wait_kmcnt 0x0
	global_load_b32 v0, v0, s[6:7] scale_offset
	s_wait_loadcnt 0x0
	v_add_f32_e32 v0, 0xc0400000, v0
	s_delay_alu instid0(VALU_DEP_1) | instskip(NEXT) | instid1(VALU_DEP_1)
	v_and_b32_e32 v1, 0x7fffffff, v0
	v_div_scale_f32 v2, null, 0x40400000, 0x40400000, v1
	v_div_scale_f32 v1, vcc_lo, v1, 0x40400000, v1
	s_delay_alu instid0(VALU_DEP_2) | instskip(SKIP_1) | instid1(TRANS32_DEP_1)
	v_rcp_f32_e32 v3, v2
	v_nop
	v_fma_f32 v4, -v2, v3, 1.0
	s_delay_alu instid0(VALU_DEP_1) | instskip(NEXT) | instid1(VALU_DEP_1)
	v_fmac_f32_e32 v3, v4, v3
	v_mul_f32_e32 v4, v1, v3
	s_delay_alu instid0(VALU_DEP_1) | instskip(NEXT) | instid1(VALU_DEP_1)
	v_fma_f32 v5, -v2, v4, v1
	v_fmac_f32_e32 v4, v5, v3
	s_delay_alu instid0(VALU_DEP_1) | instskip(NEXT) | instid1(VALU_DEP_1)
	v_fma_f32 v1, -v2, v4, v1
	v_div_fmas_f32 v1, v1, v3, v4
	s_delay_alu instid0(VALU_DEP_1) | instskip(NEXT) | instid1(VALU_DEP_1)
	v_div_fixup_f32 v0, v1, 0x40400000, |v0|
	v_cvt_f64_f32_e32 v[0:1], v0
	s_delay_alu instid0(VALU_DEP_1)
	v_cmp_lt_f64_e32 vcc_lo, s[0:1], v[0:1]
	s_and_b32 exec_lo, exec_lo, vcc_lo
	s_cbranch_execz .LBB2_6
; %bb.4:
	s_mov_b32 s0, exec_lo
	s_delay_alu instid0(SALU_CYCLE_1) | instskip(NEXT) | instid1(VALU_DEP_1)
	v_mbcnt_lo_u32_b32 v0, s0, 0
	v_cmp_eq_u32_e32 vcc_lo, 0, v0
	s_and_b32 s1, exec_lo, vcc_lo
	s_delay_alu instid0(SALU_CYCLE_1)
	s_mov_b32 exec_lo, s1
	s_cbranch_execz .LBB2_6
; %bb.5:
	s_bcnt1_i32_b32 s0, s0
	s_delay_alu instid0(SALU_CYCLE_1)
	v_dual_mov_b32 v0, 0 :: v_dual_mov_b32 v1, s0
	global_atomic_add_u32 v0, v1, s[4:5] scope:SCOPE_DEV
.LBB2_6:
	s_endpgm
	.section	.rodata,"a",@progbits
	.p2align	6, 0x0
	.amdhsa_kernel _Z12check_kernelIfEvPiPKT_iiiS1_S1_S1_d
		.amdhsa_group_segment_fixed_size 0
		.amdhsa_private_segment_fixed_size 0
		.amdhsa_kernarg_size 304
		.amdhsa_user_sgpr_count 2
		.amdhsa_user_sgpr_dispatch_ptr 0
		.amdhsa_user_sgpr_queue_ptr 0
		.amdhsa_user_sgpr_kernarg_segment_ptr 1
		.amdhsa_user_sgpr_dispatch_id 0
		.amdhsa_user_sgpr_kernarg_preload_length 0
		.amdhsa_user_sgpr_kernarg_preload_offset 0
		.amdhsa_user_sgpr_private_segment_size 0
		.amdhsa_wavefront_size32 1
		.amdhsa_uses_dynamic_stack 0
		.amdhsa_enable_private_segment 0
		.amdhsa_system_sgpr_workgroup_id_x 1
		.amdhsa_system_sgpr_workgroup_id_y 1
		.amdhsa_system_sgpr_workgroup_id_z 1
		.amdhsa_system_sgpr_workgroup_info 0
		.amdhsa_system_vgpr_workitem_id 2
		.amdhsa_next_free_vgpr 6
		.amdhsa_next_free_sgpr 11
		.amdhsa_named_barrier_count 0
		.amdhsa_reserve_vcc 1
		.amdhsa_float_round_mode_32 0
		.amdhsa_float_round_mode_16_64 0
		.amdhsa_float_denorm_mode_32 3
		.amdhsa_float_denorm_mode_16_64 3
		.amdhsa_fp16_overflow 0
		.amdhsa_memory_ordered 1
		.amdhsa_forward_progress 1
		.amdhsa_inst_pref_size 5
		.amdhsa_round_robin_scheduling 0
		.amdhsa_exception_fp_ieee_invalid_op 0
		.amdhsa_exception_fp_denorm_src 0
		.amdhsa_exception_fp_ieee_div_zero 0
		.amdhsa_exception_fp_ieee_overflow 0
		.amdhsa_exception_fp_ieee_underflow 0
		.amdhsa_exception_fp_ieee_inexact 0
		.amdhsa_exception_int_div_zero 0
	.end_amdhsa_kernel
	.section	.text._Z12check_kernelIfEvPiPKT_iiiS1_S1_S1_d,"axG",@progbits,_Z12check_kernelIfEvPiPKT_iiiS1_S1_S1_d,comdat
.Lfunc_end2:
	.size	_Z12check_kernelIfEvPiPKT_iiiS1_S1_S1_d, .Lfunc_end2-_Z12check_kernelIfEvPiPKT_iiiS1_S1_S1_d
                                        ; -- End function
	.set _Z12check_kernelIfEvPiPKT_iiiS1_S1_S1_d.num_vgpr, 6
	.set _Z12check_kernelIfEvPiPKT_iiiS1_S1_S1_d.num_agpr, 0
	.set _Z12check_kernelIfEvPiPKT_iiiS1_S1_S1_d.numbered_sgpr, 11
	.set _Z12check_kernelIfEvPiPKT_iiiS1_S1_S1_d.num_named_barrier, 0
	.set _Z12check_kernelIfEvPiPKT_iiiS1_S1_S1_d.private_seg_size, 0
	.set _Z12check_kernelIfEvPiPKT_iiiS1_S1_S1_d.uses_vcc, 1
	.set _Z12check_kernelIfEvPiPKT_iiiS1_S1_S1_d.uses_flat_scratch, 0
	.set _Z12check_kernelIfEvPiPKT_iiiS1_S1_S1_d.has_dyn_sized_stack, 0
	.set _Z12check_kernelIfEvPiPKT_iiiS1_S1_S1_d.has_recursion, 0
	.set _Z12check_kernelIfEvPiPKT_iiiS1_S1_S1_d.has_indirect_call, 0
	.section	.AMDGPU.csdata,"",@progbits
; Kernel info:
; codeLenInByte = 616
; TotalNumSgprs: 13
; NumVgprs: 6
; ScratchSize: 0
; MemoryBound: 0
; FloatMode: 240
; IeeeMode: 1
; LDSByteSize: 0 bytes/workgroup (compile time only)
; SGPRBlocks: 0
; VGPRBlocks: 0
; NumSGPRsForWavesPerEU: 13
; NumVGPRsForWavesPerEU: 6
; NamedBarCnt: 0
; Occupancy: 16
; WaveLimiterHint : 0
; COMPUTE_PGM_RSRC2:SCRATCH_EN: 0
; COMPUTE_PGM_RSRC2:USER_SGPR: 2
; COMPUTE_PGM_RSRC2:TRAP_HANDLER: 0
; COMPUTE_PGM_RSRC2:TGID_X_EN: 1
; COMPUTE_PGM_RSRC2:TGID_Y_EN: 1
; COMPUTE_PGM_RSRC2:TGID_Z_EN: 1
; COMPUTE_PGM_RSRC2:TIDIG_COMP_CNT: 2
	.section	.AMDGPU.gpr_maximums,"",@progbits
	.set amdgpu.max_num_vgpr, 0
	.set amdgpu.max_num_agpr, 0
	.set amdgpu.max_num_sgpr, 0
	.section	.AMDGPU.csdata,"",@progbits
	.type	__hip_cuid_b5db53fd6dd70433,@object ; @__hip_cuid_b5db53fd6dd70433
	.section	.bss,"aw",@nobits
	.globl	__hip_cuid_b5db53fd6dd70433
__hip_cuid_b5db53fd6dd70433:
	.byte	0                               ; 0x0
	.size	__hip_cuid_b5db53fd6dd70433, 1

	.ident	"AMD clang version 22.0.0git (https://github.com/RadeonOpenCompute/llvm-project roc-7.2.4 26084 f58b06dce1f9c15707c5f808fd002e18c2accf7e)"
	.section	".note.GNU-stack","",@progbits
	.addrsig
	.addrsig_sym __hip_cuid_b5db53fd6dd70433
	.amdgpu_metadata
---
amdhsa.kernels:
  - .args:
      - .address_space:  global
        .offset:         0
        .size:           8
        .value_kind:     global_buffer
      - .offset:         8
        .size:           4
        .value_kind:     by_value
      - .offset:         12
        .size:           4
        .value_kind:     by_value
      - .offset:         16
        .size:           4
        .value_kind:     by_value
      - .offset:         20
        .size:           4
        .value_kind:     by_value
      - .offset:         24
        .size:           4
        .value_kind:     by_value
      - .offset:         28
        .size:           4
        .value_kind:     by_value
      - .offset:         32
        .size:           4
        .value_kind:     hidden_block_count_x
      - .offset:         36
        .size:           4
        .value_kind:     hidden_block_count_y
      - .offset:         40
        .size:           4
        .value_kind:     hidden_block_count_z
      - .offset:         44
        .size:           2
        .value_kind:     hidden_group_size_x
      - .offset:         46
        .size:           2
        .value_kind:     hidden_group_size_y
      - .offset:         48
        .size:           2
        .value_kind:     hidden_group_size_z
      - .offset:         50
        .size:           2
        .value_kind:     hidden_remainder_x
      - .offset:         52
        .size:           2
        .value_kind:     hidden_remainder_y
      - .offset:         54
        .size:           2
        .value_kind:     hidden_remainder_z
      - .offset:         72
        .size:           8
        .value_kind:     hidden_global_offset_x
      - .offset:         80
        .size:           8
        .value_kind:     hidden_global_offset_y
      - .offset:         88
        .size:           8
        .value_kind:     hidden_global_offset_z
      - .offset:         96
        .size:           2
        .value_kind:     hidden_grid_dims
    .group_segment_fixed_size: 0
    .kernarg_segment_align: 8
    .kernarg_segment_size: 288
    .language:       OpenCL C
    .language_version:
      - 2
      - 0
    .max_flat_workgroup_size: 1024
    .name:           _Z20test_function_kernelIfEvPT_iiiS0_S0_S0_
    .private_segment_fixed_size: 0
    .sgpr_count:     18
    .sgpr_spill_count: 0
    .symbol:         _Z20test_function_kernelIfEvPT_iiiS0_S0_S0_.kd
    .uniform_work_group_size: 1
    .uses_dynamic_stack: false
    .vgpr_count:     12
    .vgpr_spill_count: 0
    .wavefront_size: 32
  - .args:
      - .address_space:  global
        .offset:         0
        .size:           8
        .value_kind:     global_buffer
      - .address_space:  global
        .offset:         8
        .size:           8
        .value_kind:     global_buffer
      - .offset:         16
        .size:           4
        .value_kind:     by_value
      - .offset:         20
        .size:           4
        .value_kind:     by_value
      - .offset:         24
        .size:           4
        .value_kind:     by_value
      - .offset:         28
        .size:           4
        .value_kind:     by_value
      - .offset:         32
        .size:           4
        .value_kind:     by_value
      - .offset:         36
        .size:           4
        .value_kind:     by_value
      - .offset:         40
        .size:           4
        .value_kind:     by_value
      - .offset:         48
        .size:           4
        .value_kind:     hidden_block_count_x
      - .offset:         52
        .size:           4
        .value_kind:     hidden_block_count_y
      - .offset:         56
        .size:           4
        .value_kind:     hidden_block_count_z
      - .offset:         60
        .size:           2
        .value_kind:     hidden_group_size_x
      - .offset:         62
        .size:           2
        .value_kind:     hidden_group_size_y
      - .offset:         64
        .size:           2
        .value_kind:     hidden_group_size_z
      - .offset:         66
        .size:           2
        .value_kind:     hidden_remainder_x
      - .offset:         68
        .size:           2
        .value_kind:     hidden_remainder_y
      - .offset:         70
        .size:           2
        .value_kind:     hidden_remainder_z
      - .offset:         88
        .size:           8
        .value_kind:     hidden_global_offset_x
      - .offset:         96
        .size:           8
        .value_kind:     hidden_global_offset_y
      - .offset:         104
        .size:           8
        .value_kind:     hidden_global_offset_z
      - .offset:         112
        .size:           2
        .value_kind:     hidden_grid_dims
    .group_segment_fixed_size: 0
    .kernarg_segment_align: 8
    .kernarg_segment_size: 304
    .language:       OpenCL C
    .language_version:
      - 2
      - 0
    .max_flat_workgroup_size: 1024
    .name:           _Z16laplacian_kernelIfEvPT_PKS0_iiiS0_S0_S0_S0_
    .private_segment_fixed_size: 0
    .sgpr_count:     16
    .sgpr_spill_count: 0
    .symbol:         _Z16laplacian_kernelIfEvPT_PKS0_iiiS0_S0_S0_S0_.kd
    .uniform_work_group_size: 1
    .uses_dynamic_stack: false
    .vgpr_count:     18
    .vgpr_spill_count: 0
    .wavefront_size: 32
  - .args:
      - .address_space:  global
        .offset:         0
        .size:           8
        .value_kind:     global_buffer
      - .address_space:  global
        .offset:         8
        .size:           8
        .value_kind:     global_buffer
      - .offset:         16
        .size:           4
        .value_kind:     by_value
      - .offset:         20
        .size:           4
        .value_kind:     by_value
      - .offset:         24
        .size:           4
        .value_kind:     by_value
      - .offset:         28
        .size:           4
        .value_kind:     by_value
      - .offset:         32
        .size:           4
        .value_kind:     by_value
      - .offset:         36
        .size:           4
        .value_kind:     by_value
      - .offset:         40
        .size:           8
        .value_kind:     by_value
      - .offset:         48
        .size:           4
        .value_kind:     hidden_block_count_x
      - .offset:         52
        .size:           4
        .value_kind:     hidden_block_count_y
      - .offset:         56
        .size:           4
        .value_kind:     hidden_block_count_z
      - .offset:         60
        .size:           2
        .value_kind:     hidden_group_size_x
      - .offset:         62
        .size:           2
        .value_kind:     hidden_group_size_y
      - .offset:         64
        .size:           2
        .value_kind:     hidden_group_size_z
      - .offset:         66
        .size:           2
        .value_kind:     hidden_remainder_x
      - .offset:         68
        .size:           2
        .value_kind:     hidden_remainder_y
      - .offset:         70
        .size:           2
        .value_kind:     hidden_remainder_z
      - .offset:         88
        .size:           8
        .value_kind:     hidden_global_offset_x
      - .offset:         96
        .size:           8
        .value_kind:     hidden_global_offset_y
      - .offset:         104
        .size:           8
        .value_kind:     hidden_global_offset_z
      - .offset:         112
        .size:           2
        .value_kind:     hidden_grid_dims
    .group_segment_fixed_size: 0
    .kernarg_segment_align: 8
    .kernarg_segment_size: 304
    .language:       OpenCL C
    .language_version:
      - 2
      - 0
    .max_flat_workgroup_size: 1024
    .name:           _Z12check_kernelIfEvPiPKT_iiiS1_S1_S1_d
    .private_segment_fixed_size: 0
    .sgpr_count:     13
    .sgpr_spill_count: 0
    .symbol:         _Z12check_kernelIfEvPiPKT_iiiS1_S1_S1_d.kd
    .uniform_work_group_size: 1
    .uses_dynamic_stack: false
    .vgpr_count:     6
    .vgpr_spill_count: 0
    .wavefront_size: 32
amdhsa.target:   amdgcn-amd-amdhsa--gfx1250
amdhsa.version:
  - 1
  - 2
...

	.end_amdgpu_metadata
